;; amdgpu-corpus repo=ROCm/rocFFT kind=compiled arch=gfx950 opt=O3
	.text
	.amdgcn_target "amdgcn-amd-amdhsa--gfx950"
	.amdhsa_code_object_version 6
	.protected	fft_rtc_back_len110_factors_2_5_11_wgs_198_tpt_11_sp_ip_CI_unitstride_sbrr_R2C_dirReg ; -- Begin function fft_rtc_back_len110_factors_2_5_11_wgs_198_tpt_11_sp_ip_CI_unitstride_sbrr_R2C_dirReg
	.globl	fft_rtc_back_len110_factors_2_5_11_wgs_198_tpt_11_sp_ip_CI_unitstride_sbrr_R2C_dirReg
	.p2align	8
	.type	fft_rtc_back_len110_factors_2_5_11_wgs_198_tpt_11_sp_ip_CI_unitstride_sbrr_R2C_dirReg,@function
fft_rtc_back_len110_factors_2_5_11_wgs_198_tpt_11_sp_ip_CI_unitstride_sbrr_R2C_dirReg: ; @fft_rtc_back_len110_factors_2_5_11_wgs_198_tpt_11_sp_ip_CI_unitstride_sbrr_R2C_dirReg
; %bb.0:
	s_load_dwordx2 s[8:9], s[0:1], 0x50
	s_load_dwordx4 s[4:7], s[0:1], 0x0
	s_load_dwordx2 s[10:11], s[0:1], 0x18
	v_mul_u32_u24_e32 v1, 0x1746, v0
	v_lshrrev_b32_e32 v2, 16, v1
	v_mad_u64_u32 v[2:3], s[2:3], s2, 18, v[2:3]
	v_mov_b32_e32 v6, 0
	v_mov_b32_e32 v3, v6
	s_waitcnt lgkmcnt(0)
	v_cmp_lt_u64_e64 s[2:3], s[6:7], 2
	s_and_b64 vcc, exec, s[2:3]
	v_mov_b64_e32 v[4:5], 0
	v_mov_b64_e32 v[10:11], v[2:3]
	s_cbranch_vccnz .LBB0_8
; %bb.1:
	s_load_dwordx2 s[2:3], s[0:1], 0x10
	s_add_u32 s12, s10, 8
	s_addc_u32 s13, s11, 0
	s_mov_b64 s[14:15], 1
	v_mov_b64_e32 v[4:5], 0
	s_waitcnt lgkmcnt(0)
	s_add_u32 s16, s2, 8
	s_addc_u32 s17, s3, 0
	v_mov_b64_e32 v[8:9], v[2:3]
.LBB0_2:                                ; =>This Inner Loop Header: Depth=1
	s_load_dwordx2 s[18:19], s[16:17], 0x0
                                        ; implicit-def: $vgpr10_vgpr11
	s_waitcnt lgkmcnt(0)
	v_or_b32_e32 v7, s19, v9
	v_cmp_ne_u64_e32 vcc, 0, v[6:7]
	s_and_saveexec_b64 s[2:3], vcc
	s_xor_b64 s[20:21], exec, s[2:3]
	s_cbranch_execz .LBB0_4
; %bb.3:                                ;   in Loop: Header=BB0_2 Depth=1
	v_cvt_f32_u32_e32 v1, s18
	v_cvt_f32_u32_e32 v3, s19
	s_sub_u32 s2, 0, s18
	s_subb_u32 s3, 0, s19
	v_fmac_f32_e32 v1, 0x4f800000, v3
	v_rcp_f32_e32 v1, v1
	s_nop 0
	v_mul_f32_e32 v1, 0x5f7ffffc, v1
	v_mul_f32_e32 v3, 0x2f800000, v1
	v_trunc_f32_e32 v3, v3
	v_fmac_f32_e32 v1, 0xcf800000, v3
	v_cvt_u32_f32_e32 v3, v3
	v_cvt_u32_f32_e32 v1, v1
	v_mul_lo_u32 v7, s2, v3
	v_mul_hi_u32 v10, s2, v1
	v_mul_lo_u32 v11, s3, v1
	v_add_u32_e32 v7, v10, v7
	v_mul_lo_u32 v14, s2, v1
	v_add_u32_e32 v7, v7, v11
	v_mul_hi_u32 v10, v1, v14
	v_mul_hi_u32 v13, v1, v7
	v_mul_lo_u32 v12, v1, v7
	v_mov_b32_e32 v11, v6
	v_lshl_add_u64 v[10:11], v[10:11], 0, v[12:13]
	v_mul_hi_u32 v13, v3, v14
	v_mul_lo_u32 v14, v3, v14
	v_add_co_u32_e32 v10, vcc, v10, v14
	v_mul_hi_u32 v12, v3, v7
	s_nop 0
	v_addc_co_u32_e32 v10, vcc, v11, v13, vcc
	v_mov_b32_e32 v11, v6
	s_nop 0
	v_addc_co_u32_e32 v13, vcc, 0, v12, vcc
	v_mul_lo_u32 v12, v3, v7
	v_lshl_add_u64 v[10:11], v[10:11], 0, v[12:13]
	v_add_co_u32_e32 v1, vcc, v1, v10
	v_mul_hi_u32 v10, s2, v1
	s_nop 0
	v_addc_co_u32_e32 v3, vcc, v3, v11, vcc
	v_mul_lo_u32 v7, s2, v3
	v_add_u32_e32 v7, v10, v7
	v_mul_lo_u32 v10, s3, v1
	v_add_u32_e32 v7, v7, v10
	v_mul_lo_u32 v12, s2, v1
	v_mul_hi_u32 v15, v3, v12
	v_mul_lo_u32 v16, v3, v12
	v_mul_hi_u32 v11, v1, v7
	;; [unrolled: 2-line block ×3, first 2 shown]
	v_mov_b32_e32 v13, v6
	v_lshl_add_u64 v[10:11], v[12:13], 0, v[10:11]
	v_add_co_u32_e32 v10, vcc, v10, v16
	v_mul_hi_u32 v14, v3, v7
	s_nop 0
	v_addc_co_u32_e32 v10, vcc, v11, v15, vcc
	v_mul_lo_u32 v12, v3, v7
	s_nop 0
	v_addc_co_u32_e32 v13, vcc, 0, v14, vcc
	v_mov_b32_e32 v11, v6
	v_lshl_add_u64 v[10:11], v[10:11], 0, v[12:13]
	v_add_co_u32_e32 v1, vcc, v1, v10
	v_mul_hi_u32 v12, v8, v1
	s_nop 0
	v_addc_co_u32_e32 v3, vcc, v3, v11, vcc
	v_mad_u64_u32 v[10:11], s[2:3], v8, v3, 0
	v_mov_b32_e32 v13, v6
	v_lshl_add_u64 v[10:11], v[12:13], 0, v[10:11]
	v_mad_u64_u32 v[14:15], s[2:3], v9, v1, 0
	v_add_co_u32_e32 v1, vcc, v10, v14
	v_mad_u64_u32 v[12:13], s[2:3], v9, v3, 0
	s_nop 0
	v_addc_co_u32_e32 v10, vcc, v11, v15, vcc
	v_mov_b32_e32 v11, v6
	s_nop 0
	v_addc_co_u32_e32 v13, vcc, 0, v13, vcc
	v_lshl_add_u64 v[10:11], v[10:11], 0, v[12:13]
	v_mul_lo_u32 v1, s19, v10
	v_mul_lo_u32 v3, s18, v11
	v_mad_u64_u32 v[12:13], s[2:3], s18, v10, 0
	v_add3_u32 v1, v13, v3, v1
	v_sub_u32_e32 v3, v9, v1
	v_mov_b32_e32 v7, s19
	v_sub_co_u32_e32 v16, vcc, v8, v12
	v_lshl_add_u64 v[14:15], v[10:11], 0, 1
	s_nop 0
	v_subb_co_u32_e64 v3, s[2:3], v3, v7, vcc
	v_subrev_co_u32_e64 v7, s[2:3], s18, v16
	v_subb_co_u32_e32 v1, vcc, v9, v1, vcc
	s_nop 0
	v_subbrev_co_u32_e64 v3, s[2:3], 0, v3, s[2:3]
	v_cmp_le_u32_e64 s[2:3], s19, v3
	v_cmp_le_u32_e32 vcc, s19, v1
	s_nop 0
	v_cndmask_b32_e64 v12, 0, -1, s[2:3]
	v_cmp_le_u32_e64 s[2:3], s18, v7
	s_nop 1
	v_cndmask_b32_e64 v7, 0, -1, s[2:3]
	v_cmp_eq_u32_e64 s[2:3], s19, v3
	s_nop 1
	v_cndmask_b32_e64 v3, v12, v7, s[2:3]
	v_lshl_add_u64 v[12:13], v[10:11], 0, 2
	v_cmp_ne_u32_e64 s[2:3], 0, v3
	v_cndmask_b32_e64 v7, 0, -1, vcc
	v_cmp_le_u32_e32 vcc, s18, v16
	v_cndmask_b32_e64 v3, v15, v13, s[2:3]
	s_nop 0
	v_cndmask_b32_e64 v13, 0, -1, vcc
	v_cmp_eq_u32_e32 vcc, s19, v1
	s_nop 1
	v_cndmask_b32_e32 v1, v7, v13, vcc
	v_cmp_ne_u32_e32 vcc, 0, v1
	v_cndmask_b32_e64 v1, v14, v12, s[2:3]
	s_nop 0
	v_cndmask_b32_e32 v11, v11, v3, vcc
	v_cndmask_b32_e32 v10, v10, v1, vcc
.LBB0_4:                                ;   in Loop: Header=BB0_2 Depth=1
	s_andn2_saveexec_b64 s[2:3], s[20:21]
	s_cbranch_execz .LBB0_6
; %bb.5:                                ;   in Loop: Header=BB0_2 Depth=1
	v_cvt_f32_u32_e32 v1, s18
	s_sub_i32 s20, 0, s18
	v_mov_b32_e32 v11, v6
	v_rcp_iflag_f32_e32 v1, v1
	s_nop 0
	v_mul_f32_e32 v1, 0x4f7ffffe, v1
	v_cvt_u32_f32_e32 v1, v1
	v_mul_lo_u32 v3, s20, v1
	v_mul_hi_u32 v3, v1, v3
	v_add_u32_e32 v1, v1, v3
	v_mul_hi_u32 v1, v8, v1
	v_mul_lo_u32 v3, v1, s18
	v_sub_u32_e32 v3, v8, v3
	v_add_u32_e32 v7, 1, v1
	v_subrev_u32_e32 v10, s18, v3
	v_cmp_le_u32_e32 vcc, s18, v3
	s_nop 1
	v_cndmask_b32_e32 v3, v3, v10, vcc
	v_cndmask_b32_e32 v1, v1, v7, vcc
	v_add_u32_e32 v7, 1, v1
	v_cmp_le_u32_e32 vcc, s18, v3
	s_nop 1
	v_cndmask_b32_e32 v10, v1, v7, vcc
.LBB0_6:                                ;   in Loop: Header=BB0_2 Depth=1
	s_or_b64 exec, exec, s[2:3]
	v_mad_u64_u32 v[12:13], s[2:3], v10, s18, 0
	s_load_dwordx2 s[2:3], s[12:13], 0x0
	s_add_u32 s14, s14, 1
	v_mul_lo_u32 v1, v11, s18
	v_mul_lo_u32 v3, v10, s19
	s_addc_u32 s15, s15, 0
	v_add3_u32 v1, v13, v3, v1
	v_sub_co_u32_e32 v3, vcc, v8, v12
	s_add_u32 s12, s12, 8
	s_nop 0
	v_subb_co_u32_e32 v1, vcc, v9, v1, vcc
	s_addc_u32 s13, s13, 0
	v_mov_b64_e32 v[8:9], s[6:7]
	s_waitcnt lgkmcnt(0)
	v_mul_lo_u32 v1, s2, v1
	v_mul_lo_u32 v7, s3, v3
	v_mad_u64_u32 v[4:5], s[2:3], s2, v3, v[4:5]
	s_add_u32 s16, s16, 8
	v_cmp_ge_u64_e32 vcc, s[14:15], v[8:9]
	v_add3_u32 v5, v7, v5, v1
	s_addc_u32 s17, s17, 0
	s_cbranch_vccnz .LBB0_8
; %bb.7:                                ;   in Loop: Header=BB0_2 Depth=1
	v_mov_b64_e32 v[8:9], v[10:11]
	s_branch .LBB0_2
.LBB0_8:
	s_lshl_b64 s[2:3], s[6:7], 3
	s_add_u32 s2, s10, s2
	s_addc_u32 s3, s11, s3
	s_load_dwordx2 s[6:7], s[2:3], 0x0
	s_load_dwordx2 s[10:11], s[0:1], 0x20
	s_mov_b32 s2, 0x1745d175
	s_waitcnt lgkmcnt(0)
	v_mad_u64_u32 v[4:5], s[0:1], s6, v10, v[4:5]
	v_mul_lo_u32 v1, s6, v11
	v_mul_lo_u32 v3, s7, v10
	s_mov_b32 s0, 0x38e38e39
	v_add3_u32 v5, v3, v5, v1
	v_mul_hi_u32 v1, v2, s0
	v_lshrrev_b32_e32 v1, 2, v1
	v_mul_lo_u32 v1, v1, 18
	v_sub_u32_e32 v1, v2, v1
	v_mul_hi_u32 v2, v0, s2
	v_mul_u32_u24_e32 v2, 11, v2
	v_sub_u32_e32 v20, v0, v2
	v_cmp_gt_u64_e32 vcc, s[10:11], v[10:11]
	v_cmp_le_u64_e64 s[0:1], s[10:11], v[10:11]
	v_add_u32_e32 v28, 11, v20
	v_add_u32_e32 v26, 22, v20
	;; [unrolled: 1-line block ×3, first 2 shown]
	s_and_saveexec_b64 s[2:3], s[0:1]
	s_xor_b64 s[0:1], exec, s[2:3]
; %bb.9:
	v_add_u32_e32 v28, 11, v20
	v_add_u32_e32 v26, 22, v20
	v_add_u32_e32 v24, 44, v20
; %bb.10:
	s_or_saveexec_b64 s[0:1], s[0:1]
	v_mul_u32_u24_e32 v0, 0x6f, v1
	v_lshl_add_u64 v[22:23], v[4:5], 3, s[8:9]
	v_lshlrev_b32_e32 v0, 3, v0
	v_lshlrev_b32_e32 v25, 3, v20
	s_xor_b64 exec, exec, s[0:1]
	s_cbranch_execz .LBB0_12
; %bb.11:
	v_mov_b32_e32 v21, 0
	v_lshl_add_u64 v[2:3], v[20:21], 3, v[22:23]
	global_load_dwordx2 v[4:5], v[2:3], off
	global_load_dwordx2 v[6:7], v[2:3], off offset:88
	global_load_dwordx2 v[8:9], v[2:3], off offset:176
	;; [unrolled: 1-line block ×9, first 2 shown]
	v_add3_u32 v1, 0, v0, v25
	s_waitcnt vmcnt(8)
	ds_write2_b64 v1, v[4:5], v[6:7] offset1:11
	s_waitcnt vmcnt(6)
	ds_write2_b64 v1, v[8:9], v[10:11] offset0:22 offset1:33
	s_waitcnt vmcnt(4)
	ds_write2_b64 v1, v[12:13], v[14:15] offset0:44 offset1:55
	;; [unrolled: 2-line block ×4, first 2 shown]
.LBB0_12:
	s_or_b64 exec, exec, s[0:1]
	v_add3_u32 v21, 0, v25, v0
	s_waitcnt lgkmcnt(0)
	s_barrier
	v_add_u32_e32 v33, 0, v0
	ds_read2_b64 v[0:3], v21 offset0:33 offset1:44
	ds_read_b64 v[8:9], v21 offset:792
	v_add_u32_e32 v32, v33, v25
	ds_read_b64 v[16:17], v32
	ds_read2_b64 v[4:7], v21 offset0:55 offset1:66
	ds_read2_b64 v[12:15], v21 offset0:11 offset1:22
	v_add_u32_e32 v27, v21, v25
	s_waitcnt lgkmcnt(3)
	v_pk_add_f32 v[18:19], v[2:3], v[8:9] neg_lo:[0,1] neg_hi:[0,1]
	ds_read2_b64 v[8:11], v21 offset0:77 offset1:88
	s_waitcnt lgkmcnt(2)
	v_pk_add_f32 v[4:5], v[16:17], v[4:5] neg_lo:[0,1] neg_hi:[0,1]
	s_waitcnt lgkmcnt(1)
	v_pk_add_f32 v[6:7], v[12:13], v[6:7] neg_lo:[0,1] neg_hi:[0,1]
	v_pk_fma_f32 v[16:17], v[16:17], 2.0, v[4:5] op_sel_hi:[1,0,1] neg_lo:[0,0,1] neg_hi:[0,0,1]
	v_lshl_add_u32 v29, v28, 4, v33
	s_waitcnt lgkmcnt(0)
	v_pk_add_f32 v[10:11], v[0:1], v[10:11] neg_lo:[0,1] neg_hi:[0,1]
	v_pk_add_f32 v[8:9], v[14:15], v[8:9] neg_lo:[0,1] neg_hi:[0,1]
	v_lshl_add_u32 v30, v26, 4, v33
	v_lshl_add_u32 v31, v24, 4, v33
	v_pk_fma_f32 v[2:3], v[2:3], 2.0, v[18:19] op_sel_hi:[1,0,1] neg_lo:[0,0,1] neg_hi:[0,0,1]
	v_pk_fma_f32 v[0:1], v[0:1], 2.0, v[10:11] op_sel_hi:[1,0,1] neg_lo:[0,0,1] neg_hi:[0,0,1]
	;; [unrolled: 1-line block ×4, first 2 shown]
	s_barrier
	ds_write2_b64 v27, v[16:17], v[4:5] offset1:1
	ds_write2_b64 v29, v[12:13], v[6:7] offset1:1
	;; [unrolled: 1-line block ×3, first 2 shown]
	ds_write2_b64 v27, v[0:1], v[10:11] offset0:66 offset1:67
	ds_write2_b64 v31, v[2:3], v[18:19] offset1:1
	v_and_b32_e32 v27, 1, v28
	v_lshlrev_b32_e32 v8, 5, v27
	s_waitcnt lgkmcnt(0)
	s_barrier
	global_load_dwordx4 v[0:3], v8, s[4:5]
	global_load_dwordx4 v[4:7], v8, s[4:5] offset:16
	v_and_b32_e32 v58, 1, v20
	v_lshlrev_b32_e32 v16, 5, v58
	global_load_dwordx4 v[8:11], v16, s[4:5]
	global_load_dwordx4 v[12:15], v16, s[4:5] offset:16
	v_lshlrev_b32_e32 v16, 3, v26
	v_lshlrev_b32_e32 v17, 3, v24
	;; [unrolled: 1-line block ×3, first 2 shown]
	v_sub_u32_e32 v40, v30, v16
	v_sub_u32_e32 v38, v31, v17
	;; [unrolled: 1-line block ×3, first 2 shown]
	ds_read2_b64 v[16:19], v21 offset0:77 offset1:88
	ds_read2_b64 v[34:37], v21 offset0:55 offset1:66
	ds_read2_b32 v[30:31], v21 offset0:66 offset1:67
	ds_read_b64 v[38:39], v38
	ds_read_b64 v[40:41], v40
	ds_read_b64 v[42:43], v21 offset:792
	s_waitcnt lgkmcnt(5)
	v_mov_b32_e32 v44, v17
	s_waitcnt lgkmcnt(3)
	v_mov_b32_e32 v45, v30
	v_mov_b32_e32 v46, v35
	v_mov_b32_e32 v47, v31
	s_mov_b32 s0, 0x3f167918
	s_mov_b32 s1, 0x3f737871
	;; [unrolled: 1-line block ×5, first 2 shown]
	s_waitcnt vmcnt(3)
	v_pk_mul_f32 v[48:49], v[34:35], v[2:3]
	v_mov_b32_e32 v54, v2
	s_waitcnt vmcnt(2)
	v_mov_b32_e32 v2, v5
	v_pk_mul_f32 v[52:53], v[44:45], v[4:5]
	v_mov_b32_e32 v35, v1
	v_mov_b32_e32 v44, v3
	s_waitcnt lgkmcnt(0)
	v_pk_mul_f32 v[56:57], v[42:43], v[6:7] op_sel:[1,0] op_sel_hi:[0,1]
	v_pk_mul_f32 v[2:3], v[16:17], v[2:3]
	v_mul_f32_e32 v31, v31, v1
	v_pk_mul_f32 v[50:51], v[16:17], v[4:5]
	v_mov_b32_e32 v55, v0
	v_pk_mul_f32 v[16:17], v[34:35], v[44:45]
	v_mov_b32_e32 v53, v56
	v_mov_b32_e32 v3, v57
	v_fmac_f32_e32 v31, v0, v30
	v_mov_b32_e32 v0, v48
	v_mov_b32_e32 v1, v50
	;; [unrolled: 1-line block ×3, first 2 shown]
	v_pk_fma_f32 v[16:17], v[46:47], v[54:55], v[16:17] neg_lo:[0,0,1] neg_hi:[0,0,1]
	v_pk_add_f32 v[44:45], v[52:53], v[2:3] neg_lo:[0,1] neg_hi:[0,1]
	v_pk_add_f32 v[34:35], v[0:1], v[50:51]
	v_mov_b32_e32 v0, v17
	v_mov_b32_e32 v2, v16
	;; [unrolled: 1-line block ×4, first 2 shown]
	v_pk_add_f32 v[0:1], v[0:1], v[2:3] neg_lo:[0,1] neg_hi:[0,1]
	ds_read_b64 v[52:53], v32
	v_mov_b32_e32 v2, v1
	v_pk_add_f32 v[50:51], v[0:1], v[2:3]
	s_waitcnt vmcnt(1)
	v_pk_mul_f32 v[0:1], v[8:9], v[40:41] op_sel:[0,1]
	v_mov_b32_e32 v4, v7
	v_pk_fma_f32 v[54:55], v[8:9], v[40:41], v[0:1] op_sel:[0,0,1] op_sel_hi:[1,1,0]
	v_pk_fma_f32 v[0:1], v[8:9], v[40:41], v[0:1] op_sel:[0,0,1] op_sel_hi:[1,0,0] neg_lo:[1,0,0] neg_hi:[1,0,0]
	v_pk_mul_f32 v[4:5], v[42:43], v[4:5] op_sel:[1,0] op_sel_hi:[0,1]
	v_mov_b32_e32 v55, v1
	v_pk_mul_f32 v[0:1], v[10:11], v[38:39] op_sel:[0,1]
	v_pk_fma_f32 v[42:43], v[42:43], v[6:7], v[4:5]
	v_pk_fma_f32 v[8:9], v[10:11], v[38:39], v[0:1] op_sel:[0,0,1] op_sel_hi:[1,1,0]
	v_pk_fma_f32 v[0:1], v[10:11], v[38:39], v[0:1] op_sel:[0,0,1] op_sel_hi:[1,0,0] neg_lo:[1,0,0] neg_hi:[1,0,0]
	v_sub_f32_e32 v59, v31, v34
	v_mov_b32_e32 v9, v1
	s_waitcnt vmcnt(0)
	v_pk_mul_f32 v[0:1], v[12:13], v[36:37] op_sel:[0,1]
	v_pk_add_f32 v[46:47], v[16:17], v[44:45] neg_lo:[0,1] neg_hi:[0,1]
	v_pk_fma_f32 v[10:11], v[12:13], v[36:37], v[0:1] op_sel:[0,0,1] op_sel_hi:[1,1,0]
	v_pk_fma_f32 v[0:1], v[12:13], v[36:37], v[0:1] op_sel:[0,0,1] op_sel_hi:[1,0,0] neg_lo:[1,0,0] neg_hi:[1,0,0]
	v_mov_b32_e32 v30, v45
	v_mov_b32_e32 v11, v1
	v_pk_mul_f32 v[0:1], v[14:15], v[18:19] op_sel:[0,1]
	v_pk_add_f32 v[6:7], v[8:9], v[10:11] neg_lo:[0,1] neg_hi:[0,1]
	v_pk_fma_f32 v[12:13], v[14:15], v[18:19], v[0:1] op_sel:[0,0,1] op_sel_hi:[1,1,0]
	v_pk_fma_f32 v[0:1], v[14:15], v[18:19], v[0:1] op_sel:[0,0,1] op_sel_hi:[1,0,0] neg_lo:[1,0,0] neg_hi:[1,0,0]
	v_pk_add_f32 v[18:19], v[54:55], v[8:9] neg_lo:[0,1] neg_hi:[0,1]
	v_mov_b32_e32 v13, v1
	v_pk_add_f32 v[0:1], v[8:9], v[10:11]
	v_pk_add_f32 v[2:3], v[54:55], v[12:13] neg_lo:[0,1] neg_hi:[0,1]
	s_waitcnt lgkmcnt(0)
	v_pk_fma_f32 v[0:1], v[0:1], 0.5, v[52:53] op_sel_hi:[1,0,1] neg_lo:[1,0,0] neg_hi:[1,0,0]
	v_pk_mul_f32 v[4:5], v[2:3], s[6:7] op_sel_hi:[1,0]
	v_pk_add_f32 v[36:37], v[12:13], v[10:11] neg_lo:[0,1] neg_hi:[0,1]
	v_pk_mul_f32 v[14:15], v[6:7], s[0:1] op_sel_hi:[1,0]
	v_pk_add_f32 v[18:19], v[18:19], v[36:37]
	v_pk_add_f32 v[36:37], v[0:1], v[4:5] op_sel:[0,1] op_sel_hi:[1,0] neg_lo:[0,1] neg_hi:[0,1]
	v_pk_add_f32 v[0:1], v[0:1], v[4:5] op_sel:[0,1] op_sel_hi:[1,0]
	v_pk_add_f32 v[4:5], v[36:37], v[14:15] op_sel:[0,1] op_sel_hi:[1,0] neg_lo:[0,1] neg_hi:[0,1]
	v_pk_add_f32 v[38:39], v[0:1], v[14:15] op_sel:[0,1] op_sel_hi:[1,0]
	v_pk_add_f32 v[14:15], v[54:55], v[12:13]
	v_pk_add_f32 v[36:37], v[8:9], v[54:55] neg_lo:[0,1] neg_hi:[0,1]
	v_pk_fma_f32 v[14:15], v[14:15], 0.5, v[52:53] op_sel_hi:[1,0,1] neg_lo:[1,0,0] neg_hi:[1,0,0]
	v_pk_add_f32 v[40:41], v[10:11], v[12:13] neg_lo:[0,1] neg_hi:[0,1]
	v_pk_mul_f32 v[6:7], v[6:7], s[6:7] op_sel_hi:[1,0]
	v_pk_add_f32 v[36:37], v[36:37], v[40:41]
	v_pk_add_f32 v[40:41], v[14:15], v[6:7] op_sel:[0,1] op_sel_hi:[1,0]
	v_pk_add_f32 v[6:7], v[14:15], v[6:7] op_sel:[0,1] op_sel_hi:[1,0] neg_lo:[0,1] neg_hi:[0,1]
	v_pk_mul_f32 v[2:3], v[2:3], s[0:1] op_sel_hi:[1,0]
	v_mov_b32_e32 v0, v4
	v_pk_add_f32 v[6:7], v[6:7], v[2:3] op_sel:[0,1] op_sel_hi:[1,0]
	v_pk_add_f32 v[14:15], v[40:41], v[2:3] op_sel:[0,1] op_sel_hi:[1,0] neg_lo:[0,1] neg_hi:[0,1]
	v_mov_b32_e32 v1, v39
	v_mov_b32_e32 v3, v7
	;; [unrolled: 1-line block ×5, first 2 shown]
	v_pk_fma_f32 v[0:1], v[18:19], s[2:3], v[0:1] op_sel_hi:[1,0,1]
	v_pk_add_f32 v[40:41], v[4:5], v[42:43] neg_lo:[0,1] neg_hi:[0,1]
	v_pk_add_f32 v[56:57], v[34:35], v[4:5] neg_lo:[0,1] neg_hi:[0,1]
	v_pk_fma_f32 v[4:5], v[36:37], s[2:3], v[6:7] op_sel_hi:[1,0,1]
	v_pk_fma_f32 v[6:7], v[18:19], s[2:3], v[38:39] op_sel_hi:[1,0,1]
	v_mov_b32_e32 v18, v17
	v_sub_f32_e32 v15, v42, v35
	v_mov_b32_e32 v2, v14
	v_sub_f32_e32 v14, v34, v31
	v_pk_add_f32 v[18:19], v[16:17], v[18:19] neg_lo:[0,1] neg_hi:[0,1]
	v_mov_b32_e32 v39, v17
	v_mov_b32_e32 v17, v16
	;; [unrolled: 1-line block ×3, first 2 shown]
	v_add_f32_e32 v34, v59, v15
	v_lshrrev_b32_e32 v15, 1, v20
	v_mul_u32_u24_e32 v15, 10, v15
	v_pk_fma_f32 v[2:3], v[36:37], s[2:3], v[2:3] op_sel_hi:[1,0,1]
	v_pk_add_f32 v[36:37], v[44:45], v[30:31] neg_lo:[0,1] neg_hi:[0,1]
	v_or_b32_e32 v15, v15, v58
	ds_read_b64 v[58:59], v29
	v_mov_b32_e32 v30, v18
	v_pk_add_f32 v[18:19], v[18:19], v[36:37]
	v_mov_b32_e32 v37, v42
	v_pk_add_f32 v[36:37], v[30:31], v[36:37] neg_lo:[0,1] neg_hi:[0,1]
	v_mov_b32_e32 v38, v31
	v_pk_add_f32 v[30:31], v[52:53], v[54:55]
	v_mov_b32_e32 v43, v45
	v_pk_add_f32 v[8:9], v[30:31], v[8:9]
	v_mov_b32_e32 v45, v44
	v_mov_b32_e32 v44, v35
	v_pk_add_f32 v[8:9], v[8:9], v[10:11]
	v_pk_mul_f32 v[48:49], v[46:47], s[0:1]
	v_lshrrev_b32_e32 v19, 1, v28
	v_pk_add_f32 v[30:31], v[8:9], v[12:13]
	s_waitcnt lgkmcnt(0)
	v_pk_add_f32 v[8:9], v[58:59], v[38:39]
	v_pk_add_f32 v[12:13], v[16:17], v[44:45]
	v_mul_lo_u32 v19, v19, 10
	v_mul_f32_e32 v11, 0x3f737871, v37
	v_pk_add_f32 v[8:9], v[8:9], v[16:17]
	v_pk_fma_f32 v[12:13], v[12:13], 0.5, v[58:59] op_sel_hi:[1,0,1] neg_lo:[1,0,0] neg_hi:[1,0,0]
	v_mov_b32_e32 v10, v49
	v_mov_b32_e32 v51, v56
	v_or_b32_e32 v27, v19, v27
	v_mov_b32_e32 v19, v37
	v_pk_add_f32 v[8:9], v[8:9], v[44:45]
	v_pk_add_f32 v[44:45], v[12:13], v[10:11]
	v_fmamk_f32 v35, v37, 0xbf737871, v13
	v_pk_add_f32 v[36:37], v[12:13], v[10:11] neg_lo:[0,1] neg_hi:[0,1]
	v_pk_add_f32 v[10:11], v[12:13], v[10:11]
	v_pk_fma_f32 v[36:37], v[46:47], s[0:1], v[36:37] neg_lo:[1,0,0] neg_hi:[1,0,0]
	v_pk_fma_f32 v[10:11], v[50:51], s[2:3], v[10:11]
	s_mov_b32 s7, s0
	v_mov_b32_e32 v37, v11
	v_pk_add_f32 v[10:11], v[38:39], v[42:43]
	v_pk_mul_f32 v[52:53], v[46:47], s[6:7]
	v_mul_f32_e32 v57, 0x3f737871, v56
	v_lshl_add_u32 v15, v15, 3, v33
	v_pk_fma_f32 v[10:11], v[10:11], 0.5, v[58:59] op_sel_hi:[1,0,1] neg_lo:[1,0,0] neg_hi:[1,0,0]
	v_pk_mul_f32 v[16:17], v[18:19], s[2:3]
	s_barrier
	ds_write2_b64 v15, v[30:31], v[0:1] offset1:2
	ds_write2_b64 v15, v[2:3], v[4:5] offset0:4 offset1:6
	ds_write_b64 v15, v[6:7] offset:64
	v_pk_fma_f32 v[12:13], v[46:47], s[6:7], v[10:11] neg_lo:[1,0,0] neg_hi:[1,0,0]
	v_mov_b32_e32 v38, v53
	v_mov_b32_e32 v56, v52
	;; [unrolled: 1-line block ×4, first 2 shown]
	v_pk_add_f32 v[8:9], v[8:9], v[42:43]
	v_pk_fma_f32 v[44:45], v[46:47], s[0:1], v[44:45]
	v_pk_add_f32 v[38:39], v[38:39], v[12:13]
	v_pk_fma_f32 v[12:13], v[46:47], s[6:7], v[10:11]
	v_pk_add_f32 v[42:43], v[10:11], v[56:57] neg_lo:[0,1] neg_hi:[0,1]
	v_mov_b32_e32 v46, v53
	v_mov_b32_e32 v47, v17
	v_pk_add_f32 v[10:11], v[14:15], v[40:41]
	v_mov_b32_e32 v40, 0x3e9e377a
	v_mov_b32_e32 v41, v17
	v_pk_mul_f32 v[54:55], v[50:51], s[2:3]
	v_pk_add_f32 v[12:13], v[12:13], v[46:47] neg_lo:[0,1] neg_hi:[0,1]
	v_pk_fma_f32 v[42:43], v[18:19], s[2:3], v[42:43]
	v_pk_mul_f32 v[14:15], v[10:11], v[40:41]
	v_pk_fma_f32 v[10:11], v[18:19], s[2:3], v[10:11] neg_lo:[1,0,0] neg_hi:[1,0,0]
	v_mov_b32_e32 v13, v43
	v_mov_b32_e32 v15, v11
	;; [unrolled: 1-line block ×5, first 2 shown]
	v_pk_add_f32 v[12:13], v[10:11], v[12:13]
	v_mov_b32_e32 v39, v16
	v_pk_mul_f32 v[16:17], v[34:35], v[40:41]
	v_pk_fma_f32 v[10:11], v[50:51], s[2:3], v[34:35] neg_lo:[1,0,0] neg_hi:[1,0,0]
	v_mov_b32_e32 v45, v54
	v_mov_b32_e32 v17, v11
	;; [unrolled: 1-line block ×4, first 2 shown]
	v_lshl_add_u32 v27, v27, 3, v33
	v_pk_add_f32 v[14:15], v[38:39], v[14:15]
	v_pk_add_f32 v[10:11], v[10:11], v[36:37]
	;; [unrolled: 1-line block ×3, first 2 shown]
	v_cmp_gt_u32_e64 s[0:1], 10, v20
	ds_write2_b64 v27, v[12:13], v[14:15] offset0:4 offset1:6
	ds_write2_b64 v27, v[8:9], v[10:11] offset1:2
	ds_write_b64 v27, v[16:17] offset:64
	s_waitcnt lgkmcnt(0)
	s_barrier
	s_and_saveexec_b64 s[2:3], s[0:1]
	s_cbranch_execz .LBB0_14
; %bb.13:
	ds_read_b64 v[30:31], v32
	ds_read2_b64 v[0:3], v21 offset0:10 offset1:20
	ds_read2_b64 v[4:7], v21 offset0:30 offset1:40
	ds_read2_b64 v[8:11], v21 offset0:50 offset1:60
	ds_read2_b64 v[12:15], v21 offset0:70 offset1:80
	ds_read2_b64 v[16:19], v21 offset0:90 offset1:100
.LBB0_14:
	s_or_b64 exec, exec, s[2:3]
	s_waitcnt lgkmcnt(0)
	s_barrier
	s_and_saveexec_b64 s[2:3], s[0:1]
	s_cbranch_execz .LBB0_16
; %bb.15:
	v_add_u32_e32 v27, -10, v20
	v_cndmask_b32_e64 v27, v27, v20, s[0:1]
	v_mul_i32_i24_e32 v34, 10, v27
	v_mov_b32_e32 v35, 0
	v_lshl_add_u64 v[54:55], v[34:35], 3, s[4:5]
	global_load_dwordx4 v[34:37], v[54:55], off offset:128
	global_load_dwordx4 v[38:41], v[54:55], off offset:112
	;; [unrolled: 1-line block ×5, first 2 shown]
	v_mov_b32_e32 v54, v1
	v_mov_b32_e32 v56, v19
	;; [unrolled: 1-line block ×10, first 2 shown]
	s_mov_b32 s16, 0xbf0a6770
	s_mov_b32 s8, 0x3f575c64
	;; [unrolled: 1-line block ×12, first 2 shown]
	s_waitcnt vmcnt(4)
	v_pk_mul_f32 v[56:57], v[56:57], v[36:37] op_sel_hi:[0,1]
	v_pk_mul_f32 v[60:61], v[60:61], v[34:35] op_sel_hi:[0,1]
	s_waitcnt vmcnt(3)
	v_pk_mul_f32 v[64:65], v[64:65], v[40:41] op_sel_hi:[0,1]
	v_pk_mul_f32 v[66:67], v[66:67], v[38:39] op_sel_hi:[0,1]
	;; [unrolled: 3-line block ×5, first 2 shown]
	v_pk_fma_f32 v[74:75], v[18:19], v[36:37], v[56:57] op_sel:[0,0,1] op_sel_hi:[1,1,0]
	v_pk_fma_f32 v[18:19], v[18:19], v[36:37], v[56:57] op_sel:[0,0,1] op_sel_hi:[0,1,0] neg_lo:[1,0,0] neg_hi:[1,0,0]
	v_pk_fma_f32 v[36:37], v[16:17], v[34:35], v[60:61] op_sel:[0,0,1] op_sel_hi:[1,1,0]
	v_pk_fma_f32 v[16:17], v[16:17], v[34:35], v[60:61] op_sel:[0,0,1] op_sel_hi:[0,1,0] neg_lo:[1,0,0] neg_hi:[1,0,0]
	;; [unrolled: 2-line block ×10, first 2 shown]
	v_mov_b32_e32 v75, v19
	v_mov_b32_e32 v51, v1
	;; [unrolled: 1-line block ×7, first 2 shown]
	v_pk_add_f32 v[12:13], v[50:51], v[74:75] neg_lo:[0,1] neg_hi:[0,1]
	v_pk_add_f32 v[14:15], v[50:51], v[74:75]
	v_pk_add_f32 v[16:17], v[44:45], v[36:37] neg_lo:[0,1] neg_hi:[0,1]
	v_pk_add_f32 v[46:47], v[38:39], v[34:35] neg_lo:[0,1] neg_hi:[0,1]
	v_pk_mul_f32 v[0:1], v[12:13], s[16:17] op_sel_hi:[1,0]
	v_mov_b32_e32 v49, v11
	v_mov_b32_e32 v53, v9
	v_pk_add_f32 v[18:19], v[44:45], v[36:37]
	v_pk_add_f32 v[54:55], v[38:39], v[34:35]
	v_pk_mul_f32 v[2:3], v[16:17], s[22:23] op_sel_hi:[1,0]
	v_pk_mul_f32 v[60:61], v[46:47], s[10:11] op_sel_hi:[1,0]
	v_pk_fma_f32 v[8:9], v[14:15], s[8:9], v[0:1] op_sel:[0,0,1] op_sel_hi:[1,0,0]
	v_pk_fma_f32 v[10:11], v[14:15], s[8:9], v[0:1] op_sel:[0,0,1] op_sel_hi:[1,0,0] neg_lo:[0,0,1] neg_hi:[0,0,1]
	v_mov_b32_e32 v43, v7
	v_pk_fma_f32 v[4:5], v[18:19], s[0:1], v[2:3] op_sel:[0,0,1] op_sel_hi:[1,0,0]
	v_pk_fma_f32 v[6:7], v[18:19], s[0:1], v[2:3] op_sel:[0,0,1] op_sel_hi:[1,0,0] neg_lo:[0,0,1] neg_hi:[0,0,1]
	v_pk_fma_f32 v[0:1], v[54:55], s[6:7], v[60:61] op_sel:[0,0,1] op_sel_hi:[1,0,0]
	v_pk_fma_f32 v[2:3], v[54:55], s[6:7], v[60:61] op_sel:[0,0,1] op_sel_hi:[1,0,0] neg_lo:[0,0,1] neg_hi:[0,0,1]
	v_mov_b32_e32 v60, v8
	v_mov_b32_e32 v61, v11
	v_pk_add_f32 v[56:57], v[42:43], v[40:41] neg_lo:[0,1] neg_hi:[0,1]
	v_mov_b32_e32 v62, v4
	v_mov_b32_e32 v63, v7
	v_pk_add_f32 v[60:61], v[30:31], v[60:61]
	v_pk_add_f32 v[58:59], v[42:43], v[40:41]
	v_mov_b32_e32 v64, v0
	v_mov_b32_e32 v65, v3
	v_pk_add_f32 v[60:61], v[62:63], v[60:61]
	v_pk_mul_f32 v[62:63], v[56:57], s[14:15] op_sel_hi:[1,0]
	v_pk_add_f32 v[60:61], v[64:65], v[60:61]
	v_pk_fma_f32 v[64:65], v[58:59], s[12:13], v[62:63] op_sel:[0,0,1] op_sel_hi:[1,0,0]
	v_pk_fma_f32 v[62:63], v[58:59], s[12:13], v[62:63] op_sel:[0,0,1] op_sel_hi:[1,0,0] neg_lo:[0,0,1] neg_hi:[0,0,1]
	v_mov_b32_e32 v66, v64
	v_mov_b32_e32 v67, v63
	v_pk_add_f32 v[60:61], v[66:67], v[60:61]
	v_pk_add_f32 v[66:67], v[52:53], v[48:49] neg_lo:[0,1] neg_hi:[0,1]
	v_pk_add_f32 v[68:69], v[52:53], v[48:49]
	v_pk_mul_f32 v[70:71], v[66:67], s[20:21] op_sel_hi:[1,0]
	v_pk_mul_f32 v[82:83], v[16:17], s[14:15] op_sel_hi:[1,0]
	v_pk_fma_f32 v[72:73], v[68:69], s[18:19], v[70:71] op_sel:[0,0,1] op_sel_hi:[1,0,0]
	v_pk_fma_f32 v[70:71], v[68:69], s[18:19], v[70:71] op_sel:[0,0,1] op_sel_hi:[1,0,0] neg_lo:[0,0,1] neg_hi:[0,0,1]
	v_mov_b32_e32 v76, v72
	v_mov_b32_e32 v77, v71
	v_pk_add_f32 v[60:61], v[76:77], v[60:61]
	v_pk_mul_f32 v[76:77], v[12:13], s[22:23] op_sel_hi:[1,0]
	v_pk_fma_f32 v[84:85], v[18:19], s[12:13], v[82:83] op_sel:[0,0,1] op_sel_hi:[1,0,0]
	v_pk_fma_f32 v[78:79], v[14:15], s[0:1], v[76:77] op_sel:[0,0,1] op_sel_hi:[1,0,0]
	v_pk_fma_f32 v[76:77], v[14:15], s[0:1], v[76:77] op_sel:[0,0,1] op_sel_hi:[1,0,0] neg_lo:[0,0,1] neg_hi:[0,0,1]
	v_mov_b32_e32 v80, v78
	v_mov_b32_e32 v81, v77
	v_pk_fma_f32 v[82:83], v[18:19], s[12:13], v[82:83] op_sel:[0,0,1] op_sel_hi:[1,0,0] neg_lo:[0,0,1] neg_hi:[0,0,1]
	v_pk_add_f32 v[80:81], v[30:31], v[80:81]
	v_mov_b32_e32 v86, v84
	v_mov_b32_e32 v87, v83
	s_mov_b32 s22, 0x3e903f40
	v_pk_add_f32 v[80:81], v[86:87], v[80:81]
	v_pk_mul_f32 v[86:87], v[46:47], s[22:23] op_sel_hi:[1,0]
	v_pk_mul_f32 v[100:101], v[16:17], s[22:23] op_sel_hi:[1,0]
	v_pk_fma_f32 v[88:89], v[54:55], s[18:19], v[86:87] op_sel:[0,0,1] op_sel_hi:[1,0,0]
	v_pk_fma_f32 v[86:87], v[54:55], s[18:19], v[86:87] op_sel:[0,0,1] op_sel_hi:[1,0,0] neg_lo:[0,0,1] neg_hi:[0,0,1]
	v_mov_b32_e32 v90, v88
	v_mov_b32_e32 v91, v87
	v_pk_add_f32 v[80:81], v[90:91], v[80:81]
	v_pk_mul_f32 v[90:91], v[56:57], s[24:25] op_sel_hi:[1,0]
	v_pk_fma_f32 v[102:103], v[18:19], s[18:19], v[100:101] op_sel:[0,0,1] op_sel_hi:[1,0,0]
	v_pk_fma_f32 v[92:93], v[58:59], s[6:7], v[90:91] op_sel:[0,0,1] op_sel_hi:[1,0,0]
	v_pk_fma_f32 v[90:91], v[58:59], s[6:7], v[90:91] op_sel:[0,0,1] op_sel_hi:[1,0,0] neg_lo:[0,0,1] neg_hi:[0,0,1]
	v_mov_b32_e32 v94, v92
	v_mov_b32_e32 v95, v91
	v_pk_add_f32 v[80:81], v[94:95], v[80:81]
	v_pk_mul_f32 v[94:95], v[66:67], s[26:27] op_sel_hi:[1,0]
	v_pk_fma_f32 v[100:101], v[18:19], s[18:19], v[100:101] op_sel:[0,0,1] op_sel_hi:[1,0,0] neg_lo:[0,0,1] neg_hi:[0,0,1]
	v_pk_fma_f32 v[96:97], v[68:69], s[8:9], v[94:95] op_sel:[0,0,1] op_sel_hi:[1,0,0]
	v_pk_fma_f32 v[94:95], v[68:69], s[8:9], v[94:95] op_sel:[0,0,1] op_sel_hi:[1,0,0] neg_lo:[0,0,1] neg_hi:[0,0,1]
	v_mov_b32_e32 v98, v96
	v_mov_b32_e32 v99, v95
	v_pk_add_f32 v[80:81], v[98:99], v[80:81]
	ds_write2_b64 v21, v[60:61], v[80:81] offset0:10 offset1:20
	v_pk_mul_f32 v[60:61], v[12:13], s[10:11] op_sel_hi:[1,0]
	v_mov_b32_e32 v104, v102
	v_pk_fma_f32 v[80:81], v[14:15], s[6:7], v[60:61] op_sel:[0,0,1] op_sel_hi:[1,0,0]
	v_pk_fma_f32 v[60:61], v[14:15], s[6:7], v[60:61] op_sel:[0,0,1] op_sel_hi:[1,0,0] neg_lo:[0,0,1] neg_hi:[0,0,1]
	v_mov_b32_e32 v98, v80
	v_mov_b32_e32 v99, v61
	v_pk_add_f32 v[98:99], v[30:31], v[98:99]
	v_mov_b32_e32 v105, v101
	s_mov_b32 s22, 0x3f68dda4
	v_pk_add_f32 v[98:99], v[104:105], v[98:99]
	v_pk_mul_f32 v[104:105], v[46:47], s[22:23] op_sel_hi:[1,0]
	v_pk_mul_f32 v[122:123], v[16:17], s[24:25] op_sel_hi:[1,0]
	v_pk_fma_f32 v[106:107], v[54:55], s[0:1], v[104:105] op_sel:[0,0,1] op_sel_hi:[1,0,0]
	v_pk_fma_f32 v[104:105], v[54:55], s[0:1], v[104:105] op_sel:[0,0,1] op_sel_hi:[1,0,0] neg_lo:[0,0,1] neg_hi:[0,0,1]
	v_mov_b32_e32 v108, v106
	v_mov_b32_e32 v109, v105
	v_pk_add_f32 v[98:99], v[108:109], v[98:99]
	v_pk_mul_f32 v[108:109], v[56:57], s[16:17] op_sel_hi:[1,0]
	v_pk_fma_f32 v[124:125], v[18:19], s[6:7], v[122:123] op_sel:[0,0,1] op_sel_hi:[1,0,0]
	v_pk_fma_f32 v[110:111], v[58:59], s[8:9], v[108:109] op_sel:[0,0,1] op_sel_hi:[1,0,0]
	v_pk_fma_f32 v[108:109], v[58:59], s[8:9], v[108:109] op_sel:[0,0,1] op_sel_hi:[1,0,0] neg_lo:[0,0,1] neg_hi:[0,0,1]
	v_mov_b32_e32 v112, v110
	v_mov_b32_e32 v113, v109
	v_pk_add_f32 v[98:99], v[112:113], v[98:99]
	v_pk_mul_f32 v[112:113], v[66:67], s[14:15] op_sel_hi:[1,0]
	v_pk_fma_f32 v[122:123], v[18:19], s[6:7], v[122:123] op_sel:[0,0,1] op_sel_hi:[1,0,0] neg_lo:[0,0,1] neg_hi:[0,0,1]
	v_pk_fma_f32 v[114:115], v[68:69], s[12:13], v[112:113] op_sel:[0,0,1] op_sel_hi:[1,0,0]
	v_pk_fma_f32 v[112:113], v[68:69], s[12:13], v[112:113] op_sel:[0,0,1] op_sel_hi:[1,0,0] neg_lo:[0,0,1] neg_hi:[0,0,1]
	v_mov_b32_e32 v116, v114
	v_mov_b32_e32 v117, v113
	v_pk_add_f32 v[98:99], v[116:117], v[98:99]
	v_pk_mul_f32 v[116:117], v[12:13], s[14:15] op_sel_hi:[1,0]
	v_mov_b32_e32 v126, v124
	v_pk_fma_f32 v[118:119], v[14:15], s[12:13], v[116:117] op_sel:[0,0,1] op_sel_hi:[1,0,0]
	v_pk_fma_f32 v[116:117], v[14:15], s[12:13], v[116:117] op_sel:[0,0,1] op_sel_hi:[1,0,0] neg_lo:[0,0,1] neg_hi:[0,0,1]
	v_mov_b32_e32 v120, v118
	v_mov_b32_e32 v121, v117
	v_pk_add_f32 v[120:121], v[30:31], v[120:121]
	v_mov_b32_e32 v127, v123
	v_pk_add_f32 v[120:121], v[126:127], v[120:121]
	v_pk_mul_f32 v[126:127], v[46:47], s[16:17] op_sel_hi:[1,0]
	v_pk_mul_f32 v[12:13], v[12:13], s[20:21] op_sel_hi:[1,0]
	v_pk_fma_f32 v[128:129], v[54:55], s[8:9], v[126:127] op_sel:[0,0,1] op_sel_hi:[1,0,0]
	v_pk_fma_f32 v[126:127], v[54:55], s[8:9], v[126:127] op_sel:[0,0,1] op_sel_hi:[1,0,0] neg_lo:[0,0,1] neg_hi:[0,0,1]
	v_mov_b32_e32 v130, v128
	v_mov_b32_e32 v131, v127
	v_pk_add_f32 v[120:121], v[130:131], v[120:121]
	v_pk_mul_f32 v[130:131], v[56:57], s[20:21] op_sel_hi:[1,0]
	v_pk_mul_f32 v[46:47], v[46:47], s[14:15] op_sel_hi:[1,0]
	v_pk_fma_f32 v[132:133], v[58:59], s[18:19], v[130:131] op_sel:[0,0,1] op_sel_hi:[1,0,0]
	v_pk_fma_f32 v[130:131], v[58:59], s[18:19], v[130:131] op_sel:[0,0,1] op_sel_hi:[1,0,0] neg_lo:[0,0,1] neg_hi:[0,0,1]
	v_mov_b32_e32 v134, v132
	v_mov_b32_e32 v135, v131
	v_pk_add_f32 v[120:121], v[134:135], v[120:121]
	v_pk_mul_f32 v[134:135], v[66:67], s[22:23] op_sel_hi:[1,0]
	v_mov_b32_e32 v117, v119
	v_pk_fma_f32 v[136:137], v[68:69], s[0:1], v[134:135] op_sel:[0,0,1] op_sel_hi:[1,0,0]
	v_pk_fma_f32 v[134:135], v[68:69], s[0:1], v[134:135] op_sel:[0,0,1] op_sel_hi:[1,0,0] neg_lo:[0,0,1] neg_hi:[0,0,1]
	v_mov_b32_e32 v138, v136
	v_mov_b32_e32 v139, v135
	v_pk_add_f32 v[120:121], v[138:139], v[120:121]
	ds_write2_b64 v21, v[98:99], v[120:121] offset0:30 offset1:40
	v_pk_fma_f32 v[98:99], v[14:15], s[18:19], v[12:13] op_sel:[0,0,1] op_sel_hi:[1,0,0]
	v_pk_fma_f32 v[12:13], v[14:15], s[18:19], v[12:13] op_sel:[0,0,1] op_sel_hi:[1,0,0] neg_lo:[0,0,1] neg_hi:[0,0,1]
	v_pk_mul_f32 v[14:15], v[16:17], s[26:27] op_sel_hi:[1,0]
	v_mov_b32_e32 v61, v81
	v_pk_fma_f32 v[16:17], v[18:19], s[8:9], v[14:15] op_sel:[0,0,1] op_sel_hi:[1,0,0]
	v_pk_fma_f32 v[14:15], v[18:19], s[8:9], v[14:15] op_sel:[0,0,1] op_sel_hi:[1,0,0] neg_lo:[0,0,1] neg_hi:[0,0,1]
	v_mov_b32_e32 v18, v98
	v_mov_b32_e32 v19, v13
	v_pk_add_f32 v[18:19], v[30:31], v[18:19]
	v_mov_b32_e32 v120, v16
	v_mov_b32_e32 v121, v15
	v_pk_add_f32 v[18:19], v[120:121], v[18:19]
	v_pk_fma_f32 v[120:121], v[54:55], s[12:13], v[46:47] op_sel:[0,0,1] op_sel_hi:[1,0,0]
	v_pk_fma_f32 v[46:47], v[54:55], s[12:13], v[46:47] op_sel:[0,0,1] op_sel_hi:[1,0,0] neg_lo:[0,0,1] neg_hi:[0,0,1]
	v_mov_b32_e32 v54, v120
	v_mov_b32_e32 v55, v47
	v_pk_add_f32 v[18:19], v[54:55], v[18:19]
	v_pk_mul_f32 v[54:55], v[56:57], s[22:23] op_sel_hi:[1,0]
	v_mov_b32_e32 v13, v99
	v_pk_fma_f32 v[56:57], v[58:59], s[0:1], v[54:55] op_sel:[0,0,1] op_sel_hi:[1,0,0]
	v_pk_fma_f32 v[54:55], v[58:59], s[0:1], v[54:55] op_sel:[0,0,1] op_sel_hi:[1,0,0] neg_lo:[0,0,1] neg_hi:[0,0,1]
	v_mov_b32_e32 v58, v56
	v_mov_b32_e32 v59, v55
	;; [unrolled: 1-line block ×3, first 2 shown]
	v_pk_add_f32 v[12:13], v[30:31], v[12:13]
	v_pk_add_f32 v[18:19], v[58:59], v[18:19]
	v_pk_mul_f32 v[58:59], v[66:67], s[10:11] op_sel_hi:[1,0]
	v_pk_add_f32 v[12:13], v[14:15], v[12:13]
	v_mov_b32_e32 v47, v121
	v_pk_fma_f32 v[66:67], v[68:69], s[6:7], v[58:59] op_sel:[0,0,1] op_sel_hi:[1,0,0]
	v_pk_fma_f32 v[58:59], v[68:69], s[6:7], v[58:59] op_sel:[0,0,1] op_sel_hi:[1,0,0] neg_lo:[0,0,1] neg_hi:[0,0,1]
	v_pk_add_f32 v[12:13], v[46:47], v[12:13]
	v_mov_b32_e32 v55, v57
	v_mov_b32_e32 v68, v66
	;; [unrolled: 1-line block ×3, first 2 shown]
	v_pk_add_f32 v[12:13], v[54:55], v[12:13]
	v_mov_b32_e32 v59, v67
	v_pk_add_f32 v[18:19], v[68:69], v[18:19]
	v_pk_add_f32 v[12:13], v[58:59], v[12:13]
	ds_write2_b64 v21, v[18:19], v[12:13] offset0:50 offset1:60
	v_pk_add_f32 v[12:13], v[30:31], v[50:51]
	v_mov_b32_e32 v123, v125
	v_pk_add_f32 v[12:13], v[12:13], v[44:45]
	v_mov_b32_e32 v101, v103
	v_pk_add_f32 v[12:13], v[12:13], v[38:39]
	v_pk_add_f32 v[14:15], v[30:31], v[60:61]
	;; [unrolled: 1-line block ×3, first 2 shown]
	v_mov_b32_e32 v127, v129
	v_pk_add_f32 v[12:13], v[12:13], v[52:53]
	v_pk_add_f32 v[14:15], v[100:101], v[14:15]
	;; [unrolled: 1-line block ×3, first 2 shown]
	v_mov_b32_e32 v105, v107
	v_pk_add_f32 v[12:13], v[12:13], v[40:41]
	v_mov_b32_e32 v131, v133
	v_pk_add_f32 v[12:13], v[12:13], v[34:35]
	v_pk_add_f32 v[14:15], v[104:105], v[14:15]
	;; [unrolled: 1-line block ×3, first 2 shown]
	v_mov_b32_e32 v109, v111
	v_pk_add_f32 v[12:13], v[12:13], v[74:75]
	ds_write_b64 v32, v[12:13]
	v_pk_add_f32 v[12:13], v[30:31], v[116:117]
	v_mov_b32_e32 v135, v137
	v_pk_add_f32 v[12:13], v[122:123], v[12:13]
	v_pk_add_f32 v[14:15], v[108:109], v[14:15]
	;; [unrolled: 1-line block ×3, first 2 shown]
	v_mov_b32_e32 v113, v115
	v_pk_add_f32 v[12:13], v[130:131], v[12:13]
	v_pk_add_f32 v[14:15], v[112:113], v[14:15]
	v_pk_add_f32 v[12:13], v[134:135], v[12:13]
	v_mov_b32_e32 v77, v79
	v_mov_b32_e32 v11, v9
	ds_write2_b64 v21, v[12:13], v[14:15] offset0:70 offset1:80
	v_pk_add_f32 v[12:13], v[30:31], v[76:77]
	v_mov_b32_e32 v83, v85
	v_pk_add_f32 v[8:9], v[30:31], v[10:11]
	v_mov_b32_e32 v7, v5
	;; [unrolled: 2-line block ×8, first 2 shown]
	v_pk_add_f32 v[12:13], v[94:95], v[12:13]
	v_pk_add_f32 v[0:1], v[70:71], v[0:1]
	ds_write2_b64 v21, v[12:13], v[0:1] offset0:90 offset1:100
.LBB0_16:
	s_or_b64 exec, exec, s[2:3]
	s_waitcnt lgkmcnt(0)
	s_barrier
	ds_read_b64 v[6:7], v32
	v_sub_u32_e32 v8, v33, v25
	v_cmp_ne_u32_e64 s[0:1], 0, v20
                                        ; implicit-def: $vgpr3
                                        ; implicit-def: $vgpr4_vgpr5
                                        ; implicit-def: $vgpr0_vgpr1
	s_and_saveexec_b64 s[2:3], s[0:1]
	s_xor_b64 s[0:1], exec, s[2:3]
	s_cbranch_execz .LBB0_18
; %bb.17:
	v_mov_b32_e32 v21, 0
	v_lshl_add_u64 v[0:1], v[20:21], 3, s[4:5]
	global_load_dwordx2 v[0:1], v[0:1], off offset:864
	ds_read_b64 v[2:3], v8 offset:880
	v_mov_b32_e32 v5, 0.5
	v_mov_b32_e32 v10, v5
	s_waitcnt lgkmcnt(0)
	v_pk_add_f32 v[12:13], v[2:3], v[6:7]
	v_pk_add_f32 v[2:3], v[6:7], v[2:3] neg_lo:[0,1] neg_hi:[0,1]
	v_mov_b32_e32 v6, v13
	v_mov_b32_e32 v7, v2
	v_pk_mul_f32 v[6:7], v[6:7], 0.5 op_sel_hi:[1,0]
	s_waitcnt vmcnt(0)
	v_mov_b32_e32 v4, v1
	v_mov_b32_e32 v2, v7
	;; [unrolled: 1-line block ×4, first 2 shown]
	v_pk_mul_f32 v[2:3], v[4:5], v[2:3]
	v_pk_mul_f32 v[14:15], v[0:1], v[6:7] op_sel_hi:[0,1]
	v_pk_fma_f32 v[16:17], v[12:13], v[10:11], v[2:3]
	v_pk_fma_f32 v[4:5], v[12:13], v[10:11], v[2:3] neg_lo:[0,0,1] neg_hi:[0,0,1]
	v_pk_fma_f32 v[2:3], v[0:1], v[6:7], v[16:17] op_sel_hi:[0,1,1] neg_lo:[1,0,0] neg_hi:[1,0,0]
	v_pk_fma_f32 v[4:5], v[0:1], v[6:7], v[4:5] op_sel_hi:[0,1,1] neg_lo:[1,0,0] neg_hi:[1,0,0]
	v_add_f32_e32 v2, v16, v14
	v_mov_b64_e32 v[0:1], v[20:21]
                                        ; implicit-def: $vgpr6_vgpr7
.LBB0_18:
	s_andn2_saveexec_b64 s[0:1], s[0:1]
	s_cbranch_execz .LBB0_20
; %bb.19:
	ds_read_b32 v1, v33 offset:444
	s_waitcnt lgkmcnt(1)
	v_mov_b32_e32 v0, v7
	v_add_f32_e32 v2, v7, v6
	s_waitcnt lgkmcnt(0)
	v_pk_add_f32 v[4:5], v[6:7], v[0:1] neg_lo:[0,1] neg_hi:[0,1]
	s_nop 0
	v_mov_b32_e32 v5, 0
	v_xor_b32_e32 v0, 0x80000000, v1
	ds_write_b32 v33, v0 offset:444
	v_mov_b64_e32 v[0:1], 0
	v_mov_b32_e32 v3, v5
.LBB0_20:
	s_or_b64 exec, exec, s[0:1]
	v_mov_b32_e32 v29, 0
	s_waitcnt lgkmcnt(0)
	v_lshl_add_u64 v[6:7], v[28:29], 3, s[4:5]
	global_load_dwordx2 v[6:7], v[6:7], off offset:864
	v_mov_b32_e32 v27, v29
	v_lshl_add_u64 v[10:11], v[26:27], 3, s[4:5]
	global_load_dwordx2 v[10:11], v[10:11], off offset:864
	s_add_u32 s0, s4, 0x360
	s_addc_u32 s1, s5, 0
	v_lshl_add_u64 v[12:13], v[0:1], 3, s[0:1]
	global_load_dwordx2 v[12:13], v[12:13], off offset:264
	v_mov_b32_e32 v25, v29
	v_lshl_add_u64 v[14:15], v[24:25], 3, s[4:5]
	global_load_dwordx2 v[14:15], v[14:15], off offset:864
	ds_write_b64 v32, v[2:3]
	ds_write_b64 v8, v[4:5] offset:880
	v_lshl_add_u32 v9, v28, 3, v33
	ds_read_b64 v[2:3], v9
	ds_read_b64 v[4:5], v8 offset:792
	v_lshl_add_u32 v21, v26, 3, v33
	v_mov_b32_e32 v17, 0.5
	v_mov_b32_e32 v18, v17
	s_waitcnt lgkmcnt(0)
	v_pk_add_f32 v[26:27], v[2:3], v[4:5]
	v_pk_add_f32 v[2:3], v[2:3], v[4:5] neg_lo:[0,1] neg_hi:[0,1]
	v_mov_b32_e32 v4, v27
	v_mov_b32_e32 v5, v2
	v_pk_mul_f32 v[4:5], v[4:5], 0.5 op_sel_hi:[1,0]
	s_waitcnt vmcnt(3)
	v_mov_b32_e32 v19, v7
	v_mov_b32_e32 v27, v4
	;; [unrolled: 1-line block ×4, first 2 shown]
	v_pk_mul_f32 v[18:19], v[26:27], v[18:19]
	s_nop 0
	v_pk_fma_f32 v[26:27], v[16:17], v[2:3], v[18:19] neg_lo:[1,0,0] neg_hi:[1,0,0]
	v_pk_fma_f32 v[2:3], v[16:17], v[2:3], v[18:19]
	v_pk_fma_f32 v[18:19], v[6:7], v[4:5], v[26:27] op_sel_hi:[0,1,1] neg_lo:[1,0,0] neg_hi:[1,0,0]
	v_pk_fma_f32 v[26:27], v[6:7], v[4:5], v[2:3] op_sel_hi:[0,1,1]
	v_pk_fma_f32 v[2:3], v[6:7], v[4:5], v[2:3] op_sel_hi:[0,1,1] neg_lo:[1,0,0] neg_hi:[1,0,0]
	v_mov_b32_e32 v27, v3
	ds_write_b64 v9, v[26:27]
	ds_write_b64 v8, v[18:19] offset:792
	ds_read_b64 v[2:3], v21
	ds_read_b64 v[4:5], v8 offset:704
	v_mov_b32_e32 v6, v17
	s_waitcnt vmcnt(2)
	v_mov_b32_e32 v7, v11
	v_mov_b32_e32 v16, v11
	v_lshl_add_u32 v9, v24, 3, v33
	s_waitcnt lgkmcnt(0)
	v_pk_add_f32 v[18:19], v[2:3], v[4:5]
	v_pk_add_f32 v[2:3], v[2:3], v[4:5] neg_lo:[0,1] neg_hi:[0,1]
	v_mov_b32_e32 v4, v19
	v_mov_b32_e32 v5, v2
	v_pk_mul_f32 v[4:5], v[4:5], 0.5 op_sel_hi:[1,0]
	s_nop 0
	v_mov_b32_e32 v19, v4
	v_mov_b32_e32 v2, v5
	v_pk_mul_f32 v[6:7], v[18:19], v[6:7]
	s_nop 0
	v_pk_fma_f32 v[18:19], v[16:17], v[2:3], v[6:7] neg_lo:[1,0,0] neg_hi:[1,0,0]
	v_pk_fma_f32 v[2:3], v[16:17], v[2:3], v[6:7]
	v_pk_fma_f32 v[6:7], v[10:11], v[4:5], v[18:19] op_sel_hi:[0,1,1] neg_lo:[1,0,0] neg_hi:[1,0,0]
	v_pk_fma_f32 v[18:19], v[10:11], v[4:5], v[2:3] op_sel_hi:[0,1,1]
	v_pk_fma_f32 v[2:3], v[10:11], v[4:5], v[2:3] op_sel_hi:[0,1,1] neg_lo:[1,0,0] neg_hi:[1,0,0]
	v_mov_b32_e32 v19, v3
	ds_write_b64 v21, v[18:19]
	ds_write_b64 v8, v[6:7] offset:704
	ds_read_b64 v[2:3], v32 offset:264
	ds_read_b64 v[4:5], v8 offset:616
	v_mov_b32_e32 v6, v17
	s_waitcnt vmcnt(1)
	v_mov_b32_e32 v7, v13
	v_mov_b32_e32 v16, v13
	s_waitcnt lgkmcnt(0)
	v_pk_add_f32 v[10:11], v[2:3], v[4:5]
	v_pk_add_f32 v[2:3], v[2:3], v[4:5] neg_lo:[0,1] neg_hi:[0,1]
	v_mov_b32_e32 v4, v11
	v_mov_b32_e32 v5, v2
	v_pk_mul_f32 v[4:5], v[4:5], 0.5 op_sel_hi:[1,0]
	s_nop 0
	v_mov_b32_e32 v11, v4
	v_mov_b32_e32 v2, v5
	v_pk_mul_f32 v[6:7], v[10:11], v[6:7]
	s_nop 0
	v_pk_fma_f32 v[10:11], v[16:17], v[2:3], v[6:7] neg_lo:[1,0,0] neg_hi:[1,0,0]
	v_pk_fma_f32 v[2:3], v[16:17], v[2:3], v[6:7]
	v_pk_fma_f32 v[6:7], v[12:13], v[4:5], v[10:11] op_sel_hi:[0,1,1] neg_lo:[1,0,0] neg_hi:[1,0,0]
	v_pk_fma_f32 v[10:11], v[12:13], v[4:5], v[2:3] op_sel_hi:[0,1,1]
	v_pk_fma_f32 v[2:3], v[12:13], v[4:5], v[2:3] op_sel_hi:[0,1,1] neg_lo:[1,0,0] neg_hi:[1,0,0]
	v_mov_b32_e32 v11, v3
	ds_write_b64 v32, v[10:11] offset:264
	ds_write_b64 v8, v[6:7] offset:616
	ds_read_b64 v[2:3], v9
	ds_read_b64 v[4:5], v8 offset:528
	v_mov_b32_e32 v6, v17
	s_waitcnt vmcnt(0)
	v_mov_b32_e32 v7, v15
	v_mov_b32_e32 v16, v15
	s_waitcnt lgkmcnt(0)
	v_pk_add_f32 v[10:11], v[2:3], v[4:5]
	v_pk_add_f32 v[2:3], v[2:3], v[4:5] neg_lo:[0,1] neg_hi:[0,1]
	v_mov_b32_e32 v4, v11
	v_mov_b32_e32 v5, v2
	v_pk_mul_f32 v[4:5], v[4:5], 0.5 op_sel_hi:[1,0]
	s_nop 0
	v_mov_b32_e32 v11, v4
	v_mov_b32_e32 v2, v5
	v_pk_mul_f32 v[6:7], v[10:11], v[6:7]
	s_nop 0
	v_pk_fma_f32 v[10:11], v[16:17], v[2:3], v[6:7] neg_lo:[1,0,0] neg_hi:[1,0,0]
	v_pk_fma_f32 v[2:3], v[16:17], v[2:3], v[6:7]
	v_pk_fma_f32 v[6:7], v[14:15], v[4:5], v[10:11] op_sel_hi:[0,1,1] neg_lo:[1,0,0] neg_hi:[1,0,0]
	v_pk_fma_f32 v[10:11], v[14:15], v[4:5], v[2:3] op_sel_hi:[0,1,1]
	v_pk_fma_f32 v[2:3], v[14:15], v[4:5], v[2:3] op_sel_hi:[0,1,1] neg_lo:[1,0,0] neg_hi:[1,0,0]
	v_mov_b32_e32 v11, v3
	ds_write_b64 v9, v[10:11]
	ds_write_b64 v8, v[6:7] offset:528
	s_waitcnt lgkmcnt(0)
	s_barrier
	s_and_saveexec_b64 s[0:1], vcc
	s_cbranch_execz .LBB0_23
; %bb.21:
	ds_read2_b64 v[2:5], v32 offset1:11
	ds_read2_b64 v[6:9], v32 offset0:22 offset1:33
	v_lshl_add_u64 v[14:15], v[0:1], 3, v[22:23]
	ds_read2_b64 v[10:13], v32 offset0:44 offset1:55
	v_cmp_eq_u32_e32 vcc, 10, v20
	s_waitcnt lgkmcnt(2)
	global_store_dwordx2 v[14:15], v[2:3], off
	global_store_dwordx2 v[14:15], v[4:5], off offset:88
	s_waitcnt lgkmcnt(1)
	global_store_dwordx2 v[14:15], v[6:7], off offset:176
	ds_read2_b64 v[0:3], v32 offset0:66 offset1:77
	ds_read2_b64 v[4:7], v32 offset0:88 offset1:99
	global_store_dwordx2 v[14:15], v[8:9], off offset:264
	s_waitcnt lgkmcnt(2)
	global_store_dwordx2 v[14:15], v[10:11], off offset:352
	global_store_dwordx2 v[14:15], v[12:13], off offset:440
	s_waitcnt lgkmcnt(1)
	global_store_dwordx2 v[14:15], v[0:1], off offset:528
	;; [unrolled: 3-line block ×3, first 2 shown]
	global_store_dwordx2 v[14:15], v[6:7], off offset:792
	s_and_b64 exec, exec, vcc
	s_cbranch_execz .LBB0_23
; %bb.22:
	ds_read_b64 v[0:1], v32 offset:800
	s_waitcnt lgkmcnt(0)
	global_store_dwordx2 v[22:23], v[0:1], off offset:880
.LBB0_23:
	s_endpgm
	.section	.rodata,"a",@progbits
	.p2align	6, 0x0
	.amdhsa_kernel fft_rtc_back_len110_factors_2_5_11_wgs_198_tpt_11_sp_ip_CI_unitstride_sbrr_R2C_dirReg
		.amdhsa_group_segment_fixed_size 0
		.amdhsa_private_segment_fixed_size 0
		.amdhsa_kernarg_size 88
		.amdhsa_user_sgpr_count 2
		.amdhsa_user_sgpr_dispatch_ptr 0
		.amdhsa_user_sgpr_queue_ptr 0
		.amdhsa_user_sgpr_kernarg_segment_ptr 1
		.amdhsa_user_sgpr_dispatch_id 0
		.amdhsa_user_sgpr_kernarg_preload_length 0
		.amdhsa_user_sgpr_kernarg_preload_offset 0
		.amdhsa_user_sgpr_private_segment_size 0
		.amdhsa_uses_dynamic_stack 0
		.amdhsa_enable_private_segment 0
		.amdhsa_system_sgpr_workgroup_id_x 1
		.amdhsa_system_sgpr_workgroup_id_y 0
		.amdhsa_system_sgpr_workgroup_id_z 0
		.amdhsa_system_sgpr_workgroup_info 0
		.amdhsa_system_vgpr_workitem_id 0
		.amdhsa_next_free_vgpr 140
		.amdhsa_next_free_sgpr 28
		.amdhsa_accum_offset 140
		.amdhsa_reserve_vcc 1
		.amdhsa_float_round_mode_32 0
		.amdhsa_float_round_mode_16_64 0
		.amdhsa_float_denorm_mode_32 3
		.amdhsa_float_denorm_mode_16_64 3
		.amdhsa_dx10_clamp 1
		.amdhsa_ieee_mode 1
		.amdhsa_fp16_overflow 0
		.amdhsa_tg_split 0
		.amdhsa_exception_fp_ieee_invalid_op 0
		.amdhsa_exception_fp_denorm_src 0
		.amdhsa_exception_fp_ieee_div_zero 0
		.amdhsa_exception_fp_ieee_overflow 0
		.amdhsa_exception_fp_ieee_underflow 0
		.amdhsa_exception_fp_ieee_inexact 0
		.amdhsa_exception_int_div_zero 0
	.end_amdhsa_kernel
	.text
.Lfunc_end0:
	.size	fft_rtc_back_len110_factors_2_5_11_wgs_198_tpt_11_sp_ip_CI_unitstride_sbrr_R2C_dirReg, .Lfunc_end0-fft_rtc_back_len110_factors_2_5_11_wgs_198_tpt_11_sp_ip_CI_unitstride_sbrr_R2C_dirReg
                                        ; -- End function
	.section	.AMDGPU.csdata,"",@progbits
; Kernel info:
; codeLenInByte = 6420
; NumSgprs: 34
; NumVgprs: 140
; NumAgprs: 0
; TotalNumVgprs: 140
; ScratchSize: 0
; MemoryBound: 0
; FloatMode: 240
; IeeeMode: 1
; LDSByteSize: 0 bytes/workgroup (compile time only)
; SGPRBlocks: 4
; VGPRBlocks: 17
; NumSGPRsForWavesPerEU: 34
; NumVGPRsForWavesPerEU: 140
; AccumOffset: 140
; Occupancy: 3
; WaveLimiterHint : 1
; COMPUTE_PGM_RSRC2:SCRATCH_EN: 0
; COMPUTE_PGM_RSRC2:USER_SGPR: 2
; COMPUTE_PGM_RSRC2:TRAP_HANDLER: 0
; COMPUTE_PGM_RSRC2:TGID_X_EN: 1
; COMPUTE_PGM_RSRC2:TGID_Y_EN: 0
; COMPUTE_PGM_RSRC2:TGID_Z_EN: 0
; COMPUTE_PGM_RSRC2:TIDIG_COMP_CNT: 0
; COMPUTE_PGM_RSRC3_GFX90A:ACCUM_OFFSET: 34
; COMPUTE_PGM_RSRC3_GFX90A:TG_SPLIT: 0
	.text
	.p2alignl 6, 3212836864
	.fill 256, 4, 3212836864
	.type	__hip_cuid_3d07f8b16cc8920e,@object ; @__hip_cuid_3d07f8b16cc8920e
	.section	.bss,"aw",@nobits
	.globl	__hip_cuid_3d07f8b16cc8920e
__hip_cuid_3d07f8b16cc8920e:
	.byte	0                               ; 0x0
	.size	__hip_cuid_3d07f8b16cc8920e, 1

	.ident	"AMD clang version 19.0.0git (https://github.com/RadeonOpenCompute/llvm-project roc-6.4.0 25133 c7fe45cf4b819c5991fe208aaa96edf142730f1d)"
	.section	".note.GNU-stack","",@progbits
	.addrsig
	.addrsig_sym __hip_cuid_3d07f8b16cc8920e
	.amdgpu_metadata
---
amdhsa.kernels:
  - .agpr_count:     0
    .args:
      - .actual_access:  read_only
        .address_space:  global
        .offset:         0
        .size:           8
        .value_kind:     global_buffer
      - .offset:         8
        .size:           8
        .value_kind:     by_value
      - .actual_access:  read_only
        .address_space:  global
        .offset:         16
        .size:           8
        .value_kind:     global_buffer
      - .actual_access:  read_only
        .address_space:  global
        .offset:         24
        .size:           8
        .value_kind:     global_buffer
      - .offset:         32
        .size:           8
        .value_kind:     by_value
      - .actual_access:  read_only
        .address_space:  global
        .offset:         40
        .size:           8
        .value_kind:     global_buffer
      - .actual_access:  read_only
        .address_space:  global
        .offset:         48
        .size:           8
        .value_kind:     global_buffer
      - .offset:         56
        .size:           4
        .value_kind:     by_value
      - .actual_access:  read_only
        .address_space:  global
        .offset:         64
        .size:           8
        .value_kind:     global_buffer
      - .actual_access:  read_only
        .address_space:  global
        .offset:         72
        .size:           8
        .value_kind:     global_buffer
      - .address_space:  global
        .offset:         80
        .size:           8
        .value_kind:     global_buffer
    .group_segment_fixed_size: 0
    .kernarg_segment_align: 8
    .kernarg_segment_size: 88
    .language:       OpenCL C
    .language_version:
      - 2
      - 0
    .max_flat_workgroup_size: 198
    .name:           fft_rtc_back_len110_factors_2_5_11_wgs_198_tpt_11_sp_ip_CI_unitstride_sbrr_R2C_dirReg
    .private_segment_fixed_size: 0
    .sgpr_count:     34
    .sgpr_spill_count: 0
    .symbol:         fft_rtc_back_len110_factors_2_5_11_wgs_198_tpt_11_sp_ip_CI_unitstride_sbrr_R2C_dirReg.kd
    .uniform_work_group_size: 1
    .uses_dynamic_stack: false
    .vgpr_count:     140
    .vgpr_spill_count: 0
    .wavefront_size: 64
amdhsa.target:   amdgcn-amd-amdhsa--gfx950
amdhsa.version:
  - 1
  - 2
...

	.end_amdgpu_metadata
